;; amdgpu-corpus repo=ROCm/rocFFT kind=compiled arch=gfx1201 opt=O3
	.text
	.amdgcn_target "amdgcn-amd-amdhsa--gfx1201"
	.amdhsa_code_object_version 6
	.protected	fft_rtc_fwd_len945_factors_3_3_3_5_7_wgs_63_tpt_63_halfLds_dp_ip_CI_unitstride_sbrr_dirReg ; -- Begin function fft_rtc_fwd_len945_factors_3_3_3_5_7_wgs_63_tpt_63_halfLds_dp_ip_CI_unitstride_sbrr_dirReg
	.globl	fft_rtc_fwd_len945_factors_3_3_3_5_7_wgs_63_tpt_63_halfLds_dp_ip_CI_unitstride_sbrr_dirReg
	.p2align	8
	.type	fft_rtc_fwd_len945_factors_3_3_3_5_7_wgs_63_tpt_63_halfLds_dp_ip_CI_unitstride_sbrr_dirReg,@function
fft_rtc_fwd_len945_factors_3_3_3_5_7_wgs_63_tpt_63_halfLds_dp_ip_CI_unitstride_sbrr_dirReg: ; @fft_rtc_fwd_len945_factors_3_3_3_5_7_wgs_63_tpt_63_halfLds_dp_ip_CI_unitstride_sbrr_dirReg
; %bb.0:
	s_clause 0x2
	s_load_b128 s[4:7], s[0:1], 0x0
	s_load_b64 s[8:9], s[0:1], 0x50
	s_load_b64 s[10:11], s[0:1], 0x18
	v_mul_u32_u24_e32 v1, 0x411, v0
	v_mov_b32_e32 v3, 0
	s_delay_alu instid0(VALU_DEP_2) | instskip(NEXT) | instid1(VALU_DEP_1)
	v_lshrrev_b32_e32 v1, 16, v1
	v_add_nc_u32_e32 v5, ttmp9, v1
	v_mov_b32_e32 v1, 0
	v_mov_b32_e32 v2, 0
	;; [unrolled: 1-line block ×3, first 2 shown]
	s_wait_kmcnt 0x0
	v_cmp_lt_u64_e64 s2, s[6:7], 2
	s_delay_alu instid0(VALU_DEP_1)
	s_and_b32 vcc_lo, exec_lo, s2
	s_cbranch_vccnz .LBB0_8
; %bb.1:
	s_load_b64 s[2:3], s[0:1], 0x10
	v_mov_b32_e32 v1, 0
	v_mov_b32_e32 v2, 0
	s_add_nc_u64 s[12:13], s[10:11], 8
	s_mov_b64 s[14:15], 1
	s_wait_kmcnt 0x0
	s_add_nc_u64 s[16:17], s[2:3], 8
	s_mov_b32 s3, 0
.LBB0_2:                                ; =>This Inner Loop Header: Depth=1
	s_load_b64 s[18:19], s[16:17], 0x0
                                        ; implicit-def: $vgpr7_vgpr8
	s_mov_b32 s2, exec_lo
	s_wait_kmcnt 0x0
	v_or_b32_e32 v4, s19, v6
	s_delay_alu instid0(VALU_DEP_1)
	v_cmpx_ne_u64_e32 0, v[3:4]
	s_wait_alu 0xfffe
	s_xor_b32 s20, exec_lo, s2
	s_cbranch_execz .LBB0_4
; %bb.3:                                ;   in Loop: Header=BB0_2 Depth=1
	s_cvt_f32_u32 s2, s18
	s_cvt_f32_u32 s21, s19
	s_sub_nc_u64 s[24:25], 0, s[18:19]
	s_wait_alu 0xfffe
	s_delay_alu instid0(SALU_CYCLE_1) | instskip(SKIP_1) | instid1(SALU_CYCLE_2)
	s_fmamk_f32 s2, s21, 0x4f800000, s2
	s_wait_alu 0xfffe
	v_s_rcp_f32 s2, s2
	s_delay_alu instid0(TRANS32_DEP_1) | instskip(SKIP_1) | instid1(SALU_CYCLE_2)
	s_mul_f32 s2, s2, 0x5f7ffffc
	s_wait_alu 0xfffe
	s_mul_f32 s21, s2, 0x2f800000
	s_wait_alu 0xfffe
	s_delay_alu instid0(SALU_CYCLE_2) | instskip(SKIP_1) | instid1(SALU_CYCLE_2)
	s_trunc_f32 s21, s21
	s_wait_alu 0xfffe
	s_fmamk_f32 s2, s21, 0xcf800000, s2
	s_cvt_u32_f32 s23, s21
	s_wait_alu 0xfffe
	s_delay_alu instid0(SALU_CYCLE_1) | instskip(SKIP_1) | instid1(SALU_CYCLE_2)
	s_cvt_u32_f32 s22, s2
	s_wait_alu 0xfffe
	s_mul_u64 s[26:27], s[24:25], s[22:23]
	s_wait_alu 0xfffe
	s_mul_hi_u32 s29, s22, s27
	s_mul_i32 s28, s22, s27
	s_mul_hi_u32 s2, s22, s26
	s_mul_i32 s30, s23, s26
	s_wait_alu 0xfffe
	s_add_nc_u64 s[28:29], s[2:3], s[28:29]
	s_mul_hi_u32 s21, s23, s26
	s_mul_hi_u32 s31, s23, s27
	s_add_co_u32 s2, s28, s30
	s_wait_alu 0xfffe
	s_add_co_ci_u32 s2, s29, s21
	s_mul_i32 s26, s23, s27
	s_add_co_ci_u32 s27, s31, 0
	s_wait_alu 0xfffe
	s_add_nc_u64 s[26:27], s[2:3], s[26:27]
	s_wait_alu 0xfffe
	v_add_co_u32 v4, s2, s22, s26
	s_delay_alu instid0(VALU_DEP_1) | instskip(SKIP_1) | instid1(VALU_DEP_1)
	s_cmp_lg_u32 s2, 0
	s_add_co_ci_u32 s23, s23, s27
	v_readfirstlane_b32 s22, v4
	s_wait_alu 0xfffe
	s_delay_alu instid0(VALU_DEP_1)
	s_mul_u64 s[24:25], s[24:25], s[22:23]
	s_wait_alu 0xfffe
	s_mul_hi_u32 s27, s22, s25
	s_mul_i32 s26, s22, s25
	s_mul_hi_u32 s2, s22, s24
	s_mul_i32 s28, s23, s24
	s_wait_alu 0xfffe
	s_add_nc_u64 s[26:27], s[2:3], s[26:27]
	s_mul_hi_u32 s21, s23, s24
	s_mul_hi_u32 s22, s23, s25
	s_wait_alu 0xfffe
	s_add_co_u32 s2, s26, s28
	s_add_co_ci_u32 s2, s27, s21
	s_mul_i32 s24, s23, s25
	s_add_co_ci_u32 s25, s22, 0
	s_wait_alu 0xfffe
	s_add_nc_u64 s[24:25], s[2:3], s[24:25]
	s_wait_alu 0xfffe
	v_add_co_u32 v4, s2, v4, s24
	s_delay_alu instid0(VALU_DEP_1) | instskip(SKIP_1) | instid1(VALU_DEP_1)
	s_cmp_lg_u32 s2, 0
	s_add_co_ci_u32 s2, s23, s25
	v_mul_hi_u32 v13, v5, v4
	s_wait_alu 0xfffe
	v_mad_co_u64_u32 v[7:8], null, v5, s2, 0
	v_mad_co_u64_u32 v[9:10], null, v6, v4, 0
	;; [unrolled: 1-line block ×3, first 2 shown]
	s_delay_alu instid0(VALU_DEP_3) | instskip(SKIP_1) | instid1(VALU_DEP_4)
	v_add_co_u32 v4, vcc_lo, v13, v7
	s_wait_alu 0xfffd
	v_add_co_ci_u32_e32 v7, vcc_lo, 0, v8, vcc_lo
	s_delay_alu instid0(VALU_DEP_2) | instskip(SKIP_1) | instid1(VALU_DEP_2)
	v_add_co_u32 v4, vcc_lo, v4, v9
	s_wait_alu 0xfffd
	v_add_co_ci_u32_e32 v4, vcc_lo, v7, v10, vcc_lo
	s_wait_alu 0xfffd
	v_add_co_ci_u32_e32 v7, vcc_lo, 0, v12, vcc_lo
	s_delay_alu instid0(VALU_DEP_2) | instskip(SKIP_1) | instid1(VALU_DEP_2)
	v_add_co_u32 v4, vcc_lo, v4, v11
	s_wait_alu 0xfffd
	v_add_co_ci_u32_e32 v9, vcc_lo, 0, v7, vcc_lo
	s_delay_alu instid0(VALU_DEP_2) | instskip(SKIP_1) | instid1(VALU_DEP_3)
	v_mul_lo_u32 v10, s19, v4
	v_mad_co_u64_u32 v[7:8], null, s18, v4, 0
	v_mul_lo_u32 v11, s18, v9
	s_delay_alu instid0(VALU_DEP_2) | instskip(NEXT) | instid1(VALU_DEP_2)
	v_sub_co_u32 v7, vcc_lo, v5, v7
	v_add3_u32 v8, v8, v11, v10
	s_delay_alu instid0(VALU_DEP_1) | instskip(SKIP_1) | instid1(VALU_DEP_1)
	v_sub_nc_u32_e32 v10, v6, v8
	s_wait_alu 0xfffd
	v_subrev_co_ci_u32_e64 v10, s2, s19, v10, vcc_lo
	v_add_co_u32 v11, s2, v4, 2
	s_wait_alu 0xf1ff
	v_add_co_ci_u32_e64 v12, s2, 0, v9, s2
	v_sub_co_u32 v13, s2, v7, s18
	v_sub_co_ci_u32_e32 v8, vcc_lo, v6, v8, vcc_lo
	s_wait_alu 0xf1ff
	v_subrev_co_ci_u32_e64 v10, s2, 0, v10, s2
	s_delay_alu instid0(VALU_DEP_3) | instskip(NEXT) | instid1(VALU_DEP_3)
	v_cmp_le_u32_e32 vcc_lo, s18, v13
	v_cmp_eq_u32_e64 s2, s19, v8
	s_wait_alu 0xfffd
	v_cndmask_b32_e64 v13, 0, -1, vcc_lo
	v_cmp_le_u32_e32 vcc_lo, s19, v10
	s_wait_alu 0xfffd
	v_cndmask_b32_e64 v14, 0, -1, vcc_lo
	v_cmp_le_u32_e32 vcc_lo, s18, v7
	;; [unrolled: 3-line block ×3, first 2 shown]
	s_wait_alu 0xfffd
	v_cndmask_b32_e64 v15, 0, -1, vcc_lo
	v_cmp_eq_u32_e32 vcc_lo, s19, v10
	s_wait_alu 0xf1ff
	s_delay_alu instid0(VALU_DEP_2)
	v_cndmask_b32_e64 v7, v15, v7, s2
	s_wait_alu 0xfffd
	v_cndmask_b32_e32 v10, v14, v13, vcc_lo
	v_add_co_u32 v13, vcc_lo, v4, 1
	s_wait_alu 0xfffd
	v_add_co_ci_u32_e32 v14, vcc_lo, 0, v9, vcc_lo
	s_delay_alu instid0(VALU_DEP_3) | instskip(SKIP_2) | instid1(VALU_DEP_3)
	v_cmp_ne_u32_e32 vcc_lo, 0, v10
	s_wait_alu 0xfffd
	v_cndmask_b32_e32 v10, v13, v11, vcc_lo
	v_cndmask_b32_e32 v8, v14, v12, vcc_lo
	v_cmp_ne_u32_e32 vcc_lo, 0, v7
	s_wait_alu 0xfffd
	s_delay_alu instid0(VALU_DEP_2)
	v_dual_cndmask_b32 v7, v4, v10 :: v_dual_cndmask_b32 v8, v9, v8
.LBB0_4:                                ;   in Loop: Header=BB0_2 Depth=1
	s_wait_alu 0xfffe
	s_and_not1_saveexec_b32 s2, s20
	s_cbranch_execz .LBB0_6
; %bb.5:                                ;   in Loop: Header=BB0_2 Depth=1
	v_cvt_f32_u32_e32 v4, s18
	s_sub_co_i32 s20, 0, s18
	s_delay_alu instid0(VALU_DEP_1) | instskip(NEXT) | instid1(TRANS32_DEP_1)
	v_rcp_iflag_f32_e32 v4, v4
	v_mul_f32_e32 v4, 0x4f7ffffe, v4
	s_delay_alu instid0(VALU_DEP_1) | instskip(SKIP_1) | instid1(VALU_DEP_1)
	v_cvt_u32_f32_e32 v4, v4
	s_wait_alu 0xfffe
	v_mul_lo_u32 v7, s20, v4
	s_delay_alu instid0(VALU_DEP_1) | instskip(NEXT) | instid1(VALU_DEP_1)
	v_mul_hi_u32 v7, v4, v7
	v_add_nc_u32_e32 v4, v4, v7
	s_delay_alu instid0(VALU_DEP_1) | instskip(NEXT) | instid1(VALU_DEP_1)
	v_mul_hi_u32 v4, v5, v4
	v_mul_lo_u32 v7, v4, s18
	v_add_nc_u32_e32 v8, 1, v4
	s_delay_alu instid0(VALU_DEP_2) | instskip(NEXT) | instid1(VALU_DEP_1)
	v_sub_nc_u32_e32 v7, v5, v7
	v_subrev_nc_u32_e32 v9, s18, v7
	v_cmp_le_u32_e32 vcc_lo, s18, v7
	s_wait_alu 0xfffd
	s_delay_alu instid0(VALU_DEP_2) | instskip(NEXT) | instid1(VALU_DEP_1)
	v_dual_cndmask_b32 v7, v7, v9 :: v_dual_cndmask_b32 v4, v4, v8
	v_cmp_le_u32_e32 vcc_lo, s18, v7
	s_delay_alu instid0(VALU_DEP_2) | instskip(SKIP_1) | instid1(VALU_DEP_1)
	v_add_nc_u32_e32 v8, 1, v4
	s_wait_alu 0xfffd
	v_dual_cndmask_b32 v7, v4, v8 :: v_dual_mov_b32 v8, v3
.LBB0_6:                                ;   in Loop: Header=BB0_2 Depth=1
	s_wait_alu 0xfffe
	s_or_b32 exec_lo, exec_lo, s2
	s_load_b64 s[20:21], s[12:13], 0x0
	s_delay_alu instid0(VALU_DEP_1)
	v_mul_lo_u32 v4, v8, s18
	v_mul_lo_u32 v11, v7, s19
	v_mad_co_u64_u32 v[9:10], null, v7, s18, 0
	s_add_nc_u64 s[14:15], s[14:15], 1
	s_add_nc_u64 s[12:13], s[12:13], 8
	s_wait_alu 0xfffe
	v_cmp_ge_u64_e64 s2, s[14:15], s[6:7]
	s_add_nc_u64 s[16:17], s[16:17], 8
	s_delay_alu instid0(VALU_DEP_2) | instskip(NEXT) | instid1(VALU_DEP_3)
	v_add3_u32 v4, v10, v11, v4
	v_sub_co_u32 v5, vcc_lo, v5, v9
	s_wait_alu 0xfffd
	s_delay_alu instid0(VALU_DEP_2) | instskip(SKIP_3) | instid1(VALU_DEP_2)
	v_sub_co_ci_u32_e32 v4, vcc_lo, v6, v4, vcc_lo
	s_and_b32 vcc_lo, exec_lo, s2
	s_wait_kmcnt 0x0
	v_mul_lo_u32 v6, s21, v5
	v_mul_lo_u32 v4, s20, v4
	v_mad_co_u64_u32 v[1:2], null, s20, v5, v[1:2]
	s_delay_alu instid0(VALU_DEP_1)
	v_add3_u32 v2, v6, v2, v4
	s_wait_alu 0xfffe
	s_cbranch_vccnz .LBB0_9
; %bb.7:                                ;   in Loop: Header=BB0_2 Depth=1
	v_dual_mov_b32 v5, v7 :: v_dual_mov_b32 v6, v8
	s_branch .LBB0_2
.LBB0_8:
	v_dual_mov_b32 v8, v6 :: v_dual_mov_b32 v7, v5
.LBB0_9:
	s_lshl_b64 s[2:3], s[6:7], 3
	v_mul_hi_u32 v5, 0x4104105, v0
	s_wait_alu 0xfffe
	s_add_nc_u64 s[2:3], s[10:11], s[2:3]
                                        ; implicit-def: $vgpr26_vgpr27
                                        ; implicit-def: $vgpr54_vgpr55
                                        ; implicit-def: $vgpr38_vgpr39
                                        ; implicit-def: $vgpr18_vgpr19
                                        ; implicit-def: $vgpr50_vgpr51
                                        ; implicit-def: $vgpr30_vgpr31
                                        ; implicit-def: $vgpr10_vgpr11
                                        ; implicit-def: $vgpr46_vgpr47
                                        ; implicit-def: $vgpr22_vgpr23
                                        ; implicit-def: $vgpr42_vgpr43
                                        ; implicit-def: $vgpr14_vgpr15
                                        ; implicit-def: $vgpr58_vgpr59
                                        ; implicit-def: $vgpr34_vgpr35
	s_load_b64 s[2:3], s[2:3], 0x0
	s_load_b64 s[0:1], s[0:1], 0x20
	s_wait_kmcnt 0x0
	v_mul_lo_u32 v3, s2, v8
	v_mul_lo_u32 v4, s3, v7
	v_mad_co_u64_u32 v[1:2], null, s2, v7, v[1:2]
	v_cmp_gt_u64_e32 vcc_lo, s[0:1], v[7:8]
                                        ; implicit-def: $vgpr6_vgpr7
	s_delay_alu instid0(VALU_DEP_2) | instskip(SKIP_1) | instid1(VALU_DEP_2)
	v_add3_u32 v2, v4, v2, v3
	v_mul_u32_u24_e32 v3, 63, v5
	v_lshlrev_b64_e32 v[82:83], 4, v[1:2]
	s_delay_alu instid0(VALU_DEP_2)
	v_sub_nc_u32_e32 v80, v0, v3
                                        ; implicit-def: $vgpr2_vgpr3
	s_and_saveexec_b32 s1, vcc_lo
; %bb.10:
	v_mov_b32_e32 v81, 0
	s_delay_alu instid0(VALU_DEP_3) | instskip(SKIP_2) | instid1(VALU_DEP_3)
	v_add_co_u32 v2, s0, s8, v82
	s_wait_alu 0xf1ff
	v_add_co_ci_u32_e64 v3, s0, s9, v83, s0
	v_lshlrev_b64_e32 v[0:1], 4, v[80:81]
	s_delay_alu instid0(VALU_DEP_1) | instskip(SKIP_1) | instid1(VALU_DEP_2)
	v_add_co_u32 v24, s0, v2, v0
	s_wait_alu 0xf1ff
	v_add_co_ci_u32_e64 v25, s0, v3, v1, s0
	s_clause 0xe
	global_load_b128 v[32:35], v[24:25], off
	global_load_b128 v[12:15], v[24:25], off offset:1008
	global_load_b128 v[0:3], v[24:25], off offset:10080
	;; [unrolled: 1-line block ×14, first 2 shown]
; %bb.11:
	s_wait_alu 0xfffe
	s_or_b32 exec_lo, exec_lo, s1
	s_wait_loadcnt 0x4
	v_add_f64_e32 v[60:61], v[0:1], v[56:57]
	v_add_f64_e32 v[62:63], v[4:5], v[40:41]
	;; [unrolled: 1-line block ×3, first 2 shown]
	s_wait_loadcnt 0x2
	v_add_f64_e32 v[66:67], v[16:17], v[48:49]
	s_wait_loadcnt 0x0
	v_add_f64_e32 v[68:69], v[24:25], v[52:53]
	v_add_f64_e32 v[70:71], v[2:3], v[58:59]
	;; [unrolled: 1-line block ×7, first 2 shown]
	v_add_f64_e64 v[84:85], v[58:59], -v[2:3]
	v_add_f64_e32 v[88:89], v[40:41], v[12:13]
	v_add_f64_e64 v[90:91], v[42:43], -v[6:7]
	v_add_f64_e32 v[94:95], v[48:49], v[28:29]
	v_add_f64_e32 v[96:97], v[52:53], v[36:37]
	;; [unrolled: 1-line block ×3, first 2 shown]
	v_add_f64_e64 v[56:57], v[56:57], -v[0:1]
	v_add_f64_e64 v[48:49], v[48:49], -v[16:17]
	v_add_f64_e32 v[92:93], v[44:45], v[20:21]
	v_add_f64_e32 v[42:43], v[42:43], v[14:15]
	v_add_f64_e64 v[40:41], v[40:41], -v[4:5]
	v_add_f64_e64 v[52:53], v[52:53], -v[24:25]
	;; [unrolled: 1-line block ×3, first 2 shown]
	s_mov_b32 s0, 0xe8584caa
	s_mov_b32 s1, 0x3febb67a
	;; [unrolled: 1-line block ×3, first 2 shown]
	s_wait_alu 0xfffe
	s_mov_b32 s2, s0
	v_mad_u32_u24 v98, v80, 24, 0
	v_add_nc_u32_e32 v103, 63, v80
	v_add_nc_u32_e32 v100, 0x7e, v80
	s_mov_b32 s7, 0xbfee6f0e
	s_mov_b32 s10, 0x4755a5e
	;; [unrolled: 1-line block ×7, first 2 shown]
	v_fma_f64 v[32:33], v[60:61], -0.5, v[32:33]
	v_fma_f64 v[12:13], v[62:63], -0.5, v[12:13]
	v_add_f64_e64 v[60:61], v[46:47], -v[10:11]
	v_add_f64_e64 v[62:63], v[50:51], -v[18:19]
	v_fma_f64 v[64:65], v[64:65], -0.5, v[20:21]
	v_fma_f64 v[28:29], v[66:67], -0.5, v[28:29]
	v_add_f64_e64 v[66:67], v[54:55], -v[26:27]
	v_fma_f64 v[36:37], v[68:69], -0.5, v[36:37]
	v_add_f64_e32 v[50:51], v[50:51], v[30:31]
	v_fma_f64 v[34:35], v[70:71], -0.5, v[34:35]
	v_fma_f64 v[30:31], v[76:77], -0.5, v[30:31]
	v_add_f64_e32 v[54:55], v[54:55], v[38:39]
	v_fma_f64 v[14:15], v[72:73], -0.5, v[14:15]
	;; [unrolled: 3-line block ×3, first 2 shown]
	v_add_f64_e32 v[0:1], v[0:1], v[78:79]
	v_add_f64_e32 v[4:5], v[4:5], v[88:89]
	v_add_f64_e32 v[68:69], v[16:17], v[94:95]
	v_add_f64_e32 v[24:25], v[24:25], v[96:97]
	v_add_f64_e32 v[58:59], v[2:3], v[58:59]
	v_add_f64_e32 v[8:9], v[8:9], v[92:93]
	v_and_b32_e32 v20, 0xff, v80
	v_lshlrev_b32_e32 v21, 4, v80
	v_add_nc_u32_e32 v94, 0xa00, v98
	v_add_nc_u32_e32 v93, 0x11b8, v98
	;; [unrolled: 1-line block ×3, first 2 shown]
	v_mul_lo_u16 v16, 0xab, v20
	v_sub_nc_u32_e32 v81, v98, v21
	v_add_nc_u32_e32 v95, 0x17a0, v98
	s_delay_alu instid0(VALU_DEP_3) | instskip(NEXT) | instid1(VALU_DEP_3)
	v_lshrrev_b16 v21, 9, v16
	v_add_nc_u32_e32 v16, 0x400, v81
	v_add_nc_u32_e32 v101, 0x1000, v81
	;; [unrolled: 1-line block ×4, first 2 shown]
	v_mul_lo_u16 v2, v21, 3
	v_fma_f64 v[70:71], v[84:85], s[0:1], v[32:33]
	v_fma_f64 v[72:73], v[90:91], s[0:1], v[12:13]
	s_wait_alu 0xfffe
	v_fma_f64 v[32:33], v[84:85], s[2:3], v[32:33]
	v_fma_f64 v[12:13], v[90:91], s[2:3], v[12:13]
	v_fma_f64 v[74:75], v[60:61], s[2:3], v[64:65]
	v_fma_f64 v[76:77], v[62:63], s[2:3], v[28:29]
	v_fma_f64 v[28:29], v[62:63], s[0:1], v[28:29]
	v_fma_f64 v[62:63], v[66:67], s[0:1], v[36:37]
	v_fma_f64 v[36:37], v[66:67], s[2:3], v[36:37]
	v_fma_f64 v[66:67], v[56:57], s[2:3], v[34:35]
	v_fma_f64 v[84:85], v[48:49], s[0:1], v[30:31]
	v_add_f64_e32 v[17:18], v[18:19], v[50:51]
	v_fma_f64 v[30:31], v[48:49], s[2:3], v[30:31]
	v_fma_f64 v[60:61], v[60:61], s[0:1], v[64:65]
	v_add_f64_e32 v[64:65], v[6:7], v[42:43]
	v_fma_f64 v[34:35], v[56:57], s[0:1], v[34:35]
	v_fma_f64 v[56:57], v[40:41], s[2:3], v[14:15]
	;; [unrolled: 3-line block ×3, first 2 shown]
	v_fma_f64 v[78:79], v[44:45], s[0:1], v[22:23]
	v_add_f64_e32 v[86:87], v[10:11], v[46:47]
	v_fma_f64 v[88:89], v[44:45], s[2:3], v[22:23]
	v_fma_f64 v[90:91], v[52:53], s[0:1], v[38:39]
	v_add_nc_u32_e32 v105, 0xc00, v81
	v_sub_nc_u16 v19, v80, v2
	v_and_b32_e32 v21, 0xffff, v21
	ds_store_2addr_b64 v98, v[0:1], v[70:71] offset1:1
	ds_store_2addr_b64 v98, v[4:5], v[72:73] offset0:189 offset1:190
	ds_store_2addr_b64 v98, v[32:33], v[12:13] offset0:2 offset1:191
	;; [unrolled: 1-line block ×3, first 2 shown]
	ds_store_2addr_b64 v93, v[68:69], v[28:29] offset1:1
	ds_store_2addr_b64 v95, v[24:25], v[62:63] offset1:1
	;; [unrolled: 1-line block ×3, first 2 shown]
	ds_store_b64 v98, v[36:37] offset:6064
	v_add_nc_u16 v28, v80, 0xbd
	global_wb scope:SCOPE_SE
	s_wait_dscnt 0x0
	s_barrier_signal -1
	s_barrier_wait -1
	global_inv scope:SCOPE_SE
	ds_load_2addr_b64 v[4:7], v81 offset1:63
	ds_load_2addr_b64 v[0:3], v16 offset0:124 offset1:187
	ds_load_2addr_b64 v[37:40], v101 offset0:118 offset1:181
	;; [unrolled: 1-line block ×6, first 2 shown]
	ds_load_b64 v[122:123], v81 offset:7056
	global_wb scope:SCOPE_SE
	s_wait_dscnt 0x0
	s_barrier_signal -1
	s_barrier_wait -1
	global_inv scope:SCOPE_SE
	ds_store_2addr_b64 v98, v[58:59], v[66:67] offset1:1
	ds_store_2addr_b64 v98, v[64:65], v[56:57] offset0:189 offset1:190
	ds_store_2addr_b64 v98, v[34:35], v[14:15] offset0:2 offset1:191
	;; [unrolled: 1-line block ×3, first 2 shown]
	ds_store_2addr_b64 v93, v[17:18], v[30:31] offset1:1
	ds_store_2addr_b64 v95, v[26:27], v[54:55] offset1:1
	v_and_b32_e32 v18, 0xff, v103
	v_and_b32_e32 v17, 0xff, v100
	;; [unrolled: 1-line block ×3, first 2 shown]
	v_add_nc_u32_e32 v30, 0xfc, v80
	v_and_b32_e32 v22, 0xff, v19
	v_mul_lo_u16 v12, 0xab, v18
	v_mul_lo_u16 v13, 0xab, v17
	;; [unrolled: 1-line block ×3, first 2 shown]
	v_and_b32_e32 v25, 0xffff, v30
	v_lshlrev_b32_e32 v15, 5, v22
	v_lshrrev_b16 v35, 9, v12
	v_lshrrev_b16 v34, 9, v13
	;; [unrolled: 1-line block ×3, first 2 shown]
	v_mul_u32_u24_e32 v12, 0xaaab, v25
	ds_store_2addr_b64 v92, v[86:87], v[88:89] offset1:1
	ds_store_b64 v98, v[90:91] offset:6064
	v_mul_lo_u16 v13, v35, 3
	v_mul_lo_u16 v14, v34, 3
	;; [unrolled: 1-line block ×3, first 2 shown]
	v_lshrrev_b32_e32 v36, 17, v12
	global_wb scope:SCOPE_SE
	s_wait_dscnt 0x0
	v_sub_nc_u16 v12, v103, v13
	v_sub_nc_u16 v13, v100, v14
	v_sub_nc_u16 v14, v28, v19
	v_mul_lo_u16 v19, v36, 3
	s_barrier_signal -1
	v_and_b32_e32 v33, 0xff, v12
	v_and_b32_e32 v31, 0xff, v13
	;; [unrolled: 1-line block ×3, first 2 shown]
	v_sub_nc_u16 v12, v30, v19
	s_barrier_wait -1
	v_lshlrev_b32_e32 v13, 5, v33
	v_lshlrev_b32_e32 v14, 5, v31
	;; [unrolled: 1-line block ×3, first 2 shown]
	v_and_b32_e32 v29, 0xffff, v12
	global_inv scope:SCOPE_SE
	s_clause 0x3
	global_load_b128 v[53:56], v15, s[4:5] offset:16
	global_load_b128 v[57:60], v15, s[4:5]
	global_load_b128 v[61:64], v13, s[4:5] offset:16
	global_load_b128 v[65:68], v13, s[4:5]
	v_and_b32_e32 v35, 0xffff, v35
	v_and_b32_e32 v23, 0xffff, v23
	v_lshlrev_b32_e32 v12, 5, v29
	s_clause 0x5
	global_load_b128 v[69:72], v14, s[4:5]
	global_load_b128 v[73:76], v14, s[4:5] offset:16
	global_load_b128 v[84:87], v19, s[4:5] offset:16
	global_load_b128 v[88:91], v19, s[4:5]
	global_load_b128 v[92:95], v12, s[4:5]
	global_load_b128 v[96:99], v12, s[4:5] offset:16
	ds_load_2addr_b64 v[106:109], v101 offset0:118 offset1:181
	ds_load_2addr_b64 v[12:15], v16 offset0:124 offset1:187
	;; [unrolled: 1-line block ×5, first 2 shown]
	ds_load_b64 v[26:27], v81 offset:7056
	v_mul_lo_u16 v19, v20, 57
	v_mul_u32_u24_e32 v79, 0x48, v36
	v_lshlrev_b32_e32 v29, 3, v29
	s_delay_alu instid0(VALU_DEP_3) | instskip(NEXT) | instid1(VALU_DEP_2)
	v_lshrrev_b16 v19, 9, v19
	v_add3_u32 v79, 0, v79, v29
	s_wait_loadcnt_dscnt 0x905
	v_mul_f64_e32 v[77:78], v[106:107], v[55:56]
	s_wait_loadcnt_dscnt 0x804
	v_mul_f64_e32 v[124:125], v[14:15], v[59:60]
	s_wait_loadcnt 0x7
	v_mul_f64_e32 v[126:127], v[108:109], v[63:64]
	s_wait_loadcnt_dscnt 0x603
	v_mul_f64_e32 v[128:129], v[110:111], v[67:68]
	s_wait_loadcnt 0x5
	;; [unrolled: 4-line block ×4, first 2 shown]
	v_mul_f64_e32 v[138:139], v[120:121], v[94:95]
	v_mul_f64_e32 v[55:56], v[37:38], v[55:56]
	;; [unrolled: 1-line block ×5, first 2 shown]
	s_wait_loadcnt_dscnt 0x0
	v_mul_f64_e32 v[140:141], v[26:27], v[98:99]
	v_mul_f64_e32 v[71:72], v[43:44], v[71:72]
	;; [unrolled: 1-line block ×7, first 2 shown]
	v_fma_f64 v[77:78], v[37:38], v[53:54], -v[77:78]
	v_fma_f64 v[2:3], v[2:3], v[57:58], -v[124:125]
	;; [unrolled: 1-line block ×9, first 2 shown]
	v_fma_f64 v[52:53], v[106:107], v[53:54], v[55:56]
	v_fma_f64 v[56:57], v[14:15], v[57:58], v[59:60]
	;; [unrolled: 1-line block ×4, first 2 shown]
	v_fma_f64 v[122:123], v[122:123], v[96:97], -v[140:141]
	v_fma_f64 v[58:59], v[112:113], v[69:70], v[71:72]
	v_fma_f64 v[63:64], v[114:115], v[73:74], v[75:76]
	;; [unrolled: 1-line block ×6, first 2 shown]
	v_mul_lo_u16 v37, v18, 57
	v_mul_lo_u16 v38, v17, 57
	;; [unrolled: 1-line block ×3, first 2 shown]
	v_mul_u32_u24_e32 v40, 0xe38f, v25
	v_mul_lo_u16 v41, v19, 9
	v_lshrrev_b16 v24, 9, v37
	v_lshrrev_b16 v25, 9, v38
	v_lshrrev_b16 v26, 9, v39
	v_lshrrev_b32_e32 v27, 19, v40
	v_mul_u32_u24_e32 v60, 0x48, v21
	v_and_b32_e32 v21, 0xffff, v34
	v_sub_nc_u16 v34, v80, v41
	v_mul_lo_u16 v36, v24, 9
	v_mul_lo_u16 v37, v25, 9
	;; [unrolled: 1-line block ×4, first 2 shown]
	v_mul_u32_u24_e32 v118, 0x48, v35
	v_mul_u32_u24_e32 v119, 0x48, v21
	;; [unrolled: 1-line block ×3, first 2 shown]
	v_add_f64_e32 v[14:15], v[2:3], v[77:78]
	v_and_b32_e32 v23, 0xff, v34
	v_add_f64_e32 v[73:74], v[126:127], v[124:125]
	v_sub_nc_u16 v21, v103, v36
	v_add_f64_e32 v[75:76], v[42:43], v[44:45]
	v_sub_nc_u16 v121, v100, v37
	;; [unrolled: 2-line block ×3, first 2 shown]
	v_sub_nc_u16 v30, v30, v39
	v_add_f64_e32 v[88:89], v[56:57], v[52:53]
	ds_load_2addr_b64 v[34:37], v81 offset1:63
	v_add_f64_e32 v[90:91], v[61:62], v[54:55]
	v_add_f64_e32 v[86:87], v[50:51], v[122:123]
	ds_load_2addr_b64 v[38:41], v81 offset0:126 offset1:189
	v_add_f64_e32 v[94:95], v[58:59], v[63:64]
	v_lshlrev_b32_e32 v128, 3, v22
	v_add_f64_e32 v[96:97], v[67:68], v[65:66]
	v_add_f64_e32 v[92:93], v[4:5], v[2:3]
	v_add_f64_e32 v[98:99], v[69:70], v[71:72]
	v_add_f64_e64 v[114:115], v[56:57], -v[52:53]
	v_and_b32_e32 v22, 0xffff, v30
	v_add_f64_e64 v[2:3], v[2:3], -v[77:78]
	v_add_f64_e32 v[106:107], v[6:7], v[126:127]
	v_add_f64_e32 v[108:109], v[8:9], v[42:43]
	v_add_f64_e64 v[116:117], v[61:62], -v[54:55]
	v_lshlrev_b32_e32 v130, 3, v32
	v_add_f64_e32 v[110:111], v[10:11], v[48:49]
	v_add_f64_e32 v[112:113], v[0:1], v[50:51]
	v_add_f64_e64 v[42:43], v[42:43], -v[44:45]
	v_add_f64_e64 v[48:49], v[48:49], -v[46:47]
	;; [unrolled: 1-line block ×3, first 2 shown]
	v_lshlrev_b32_e32 v129, 5, v23
	global_wb scope:SCOPE_SE
	s_wait_dscnt 0x0
	s_barrier_signal -1
	s_barrier_wait -1
	global_inv scope:SCOPE_SE
	v_mul_lo_u16 v17, v17, 19
	v_fma_f64 v[4:5], v[14:15], -0.5, v[4:5]
	v_and_b32_e32 v15, 0xff, v121
	v_add3_u32 v121, 0, v60, v128
	v_lshlrev_b32_e32 v128, 3, v31
	v_add_f64_e32 v[30:31], v[34:35], v[56:57]
	v_add_f64_e32 v[56:57], v[38:39], v[58:59]
	v_fma_f64 v[6:7], v[73:74], -0.5, v[6:7]
	v_add_f64_e64 v[73:74], v[58:59], -v[63:64]
	v_add_f64_e32 v[58:59], v[40:41], v[67:68]
	v_fma_f64 v[34:35], v[88:89], -0.5, v[34:35]
	v_fma_f64 v[8:9], v[75:76], -0.5, v[8:9]
	v_add_f64_e64 v[75:76], v[67:68], -v[65:66]
	v_and_b32_e32 v14, 0xff, v21
	v_and_b32_e32 v21, 0xff, v28
	v_lshlrev_b32_e32 v28, 3, v33
	v_add_f64_e32 v[32:33], v[36:37], v[61:62]
	v_add_f64_e32 v[60:61], v[12:13], v[69:70]
	v_add_f64_e64 v[67:68], v[126:127], -v[124:125]
	v_fma_f64 v[36:37], v[90:91], -0.5, v[36:37]
	v_fma_f64 v[10:11], v[84:85], -0.5, v[10:11]
	v_add_f64_e64 v[84:85], v[69:70], -v[71:72]
	v_fma_f64 v[0:1], v[86:87], -0.5, v[0:1]
	v_fma_f64 v[38:39], v[94:95], -0.5, v[38:39]
	;; [unrolled: 1-line block ×4, first 2 shown]
	v_add_f64_e32 v[69:70], v[92:93], v[77:78]
	v_add_f64_e32 v[77:78], v[106:107], v[124:125]
	;; [unrolled: 1-line block ×5, first 2 shown]
	v_lshlrev_b32_e32 v106, 5, v14
	v_add3_u32 v110, 0, v118, v28
	v_lshlrev_b32_e32 v107, 5, v15
	v_add3_u32 v111, 0, v119, v128
	v_lshlrev_b32_e32 v108, 5, v21
	v_lshlrev_b32_e32 v109, 5, v22
	v_add3_u32 v112, 0, v120, v130
	v_lshrrev_b16 v17, 9, v17
	v_fma_f64 v[88:89], v[114:115], s[0:1], v[4:5]
	v_fma_f64 v[4:5], v[114:115], s[2:3], v[4:5]
	v_add_f64_e32 v[52:53], v[30:31], v[52:53]
	v_add_f64_e32 v[56:57], v[56:57], v[63:64]
	v_fma_f64 v[90:91], v[116:117], s[0:1], v[6:7]
	v_fma_f64 v[6:7], v[116:117], s[2:3], v[6:7]
	v_add_f64_e32 v[58:59], v[58:59], v[65:66]
	v_fma_f64 v[62:63], v[2:3], s[2:3], v[34:35]
	v_fma_f64 v[64:65], v[2:3], s[0:1], v[34:35]
	;; [unrolled: 1-line block ×4, first 2 shown]
	v_add_f64_e32 v[54:55], v[32:33], v[54:55]
	v_add_f64_e32 v[60:61], v[60:61], v[71:72]
	v_fma_f64 v[71:72], v[67:68], s[2:3], v[36:37]
	v_fma_f64 v[66:67], v[67:68], s[0:1], v[36:37]
	;; [unrolled: 1-line block ×12, first 2 shown]
	ds_store_2addr_b64 v121, v[69:70], v[88:89] offset1:3
	ds_store_b64 v121, v[4:5] offset:48
	ds_store_2addr_b64 v110, v[77:78], v[90:91] offset1:3
	ds_store_b64 v110, v[6:7] offset:48
	;; [unrolled: 2-line block ×5, first 2 shown]
	global_wb scope:SCOPE_SE
	s_wait_dscnt 0x0
	s_barrier_signal -1
	s_barrier_wait -1
	global_inv scope:SCOPE_SE
	ds_load_2addr_b64 v[4:7], v81 offset1:63
	ds_load_2addr_b64 v[0:3], v16 offset0:124 offset1:187
	ds_load_2addr_b64 v[28:31], v101 offset0:118 offset1:181
	ds_load_2addr_b64 v[32:35], v102 offset0:122 offset1:185
	ds_load_2addr_b64 v[8:11], v81 offset0:126 offset1:189
	ds_load_2addr_b64 v[36:39], v104 offset0:116 offset1:179
	ds_load_2addr_b64 v[40:43], v105 offset0:120 offset1:183
	ds_load_b64 v[114:115], v81 offset:7056
	global_wb scope:SCOPE_SE
	s_wait_dscnt 0x0
	s_barrier_signal -1
	s_barrier_wait -1
	global_inv scope:SCOPE_SE
	ds_store_2addr_b64 v121, v[52:53], v[62:63] offset1:3
	ds_store_b64 v121, v[64:65] offset:48
	ds_store_2addr_b64 v110, v[54:55], v[71:72] offset1:3
	ds_store_b64 v110, v[66:67] offset:48
	;; [unrolled: 2-line block ×5, first 2 shown]
	global_wb scope:SCOPE_SE
	s_wait_dscnt 0x0
	s_barrier_signal -1
	s_barrier_wait -1
	global_inv scope:SCOPE_SE
	s_clause 0x9
	global_load_b128 v[44:47], v129, s[4:5] offset:112
	global_load_b128 v[48:51], v129, s[4:5] offset:96
	;; [unrolled: 1-line block ×10, first 2 shown]
	ds_load_2addr_b64 v[88:91], v101 offset0:118 offset1:181
	ds_load_2addr_b64 v[92:95], v16 offset0:124 offset1:187
	;; [unrolled: 1-line block ×5, first 2 shown]
	ds_load_b64 v[12:13], v81 offset:7056
	s_wait_loadcnt_dscnt 0x905
	v_mul_f64_e32 v[116:117], v[88:89], v[46:47]
	s_wait_loadcnt_dscnt 0x804
	v_mul_f64_e32 v[118:119], v[94:95], v[50:51]
	v_mul_f64_e32 v[46:47], v[28:29], v[46:47]
	;; [unrolled: 1-line block ×3, first 2 shown]
	s_wait_loadcnt 0x7
	v_mul_f64_e32 v[120:121], v[90:91], v[54:55]
	s_wait_loadcnt_dscnt 0x603
	v_mul_f64_e32 v[122:123], v[96:97], v[58:59]
	v_mul_f64_e32 v[54:55], v[30:31], v[54:55]
	;; [unrolled: 1-line block ×3, first 2 shown]
	s_wait_loadcnt_dscnt 0x101
	v_mul_f64_e32 v[132:133], v[112:113], v[78:79]
	s_wait_loadcnt_dscnt 0x0
	v_mul_f64_e32 v[134:135], v[12:13], v[86:87]
	v_mul_f64_e32 v[124:125], v[98:99], v[62:63]
	;; [unrolled: 1-line block ×11, first 2 shown]
	v_fma_f64 v[116:117], v[28:29], v[44:45], -v[116:117]
	v_fma_f64 v[118:119], v[2:3], v[48:49], -v[118:119]
	v_fma_f64 v[44:45], v[88:89], v[44:45], v[46:47]
	v_fma_f64 v[48:49], v[94:95], v[48:49], v[50:51]
	v_fma_f64 v[120:121], v[30:31], v[52:53], -v[120:121]
	v_fma_f64 v[32:33], v[32:33], v[56:57], -v[122:123]
	v_fma_f64 v[46:47], v[90:91], v[52:53], v[54:55]
	v_fma_f64 v[52:53], v[96:97], v[56:57], v[58:59]
	v_fma_f64 v[42:43], v[42:43], v[76:77], -v[132:133]
	v_fma_f64 v[114:115], v[114:115], v[84:85], -v[134:135]
	;; [unrolled: 1-line block ×4, first 2 shown]
	v_fma_f64 v[50:51], v[98:99], v[60:61], v[62:63]
	v_fma_f64 v[54:55], v[106:107], v[64:65], v[66:67]
	v_fma_f64 v[38:39], v[38:39], v[68:69], -v[128:129]
	v_fma_f64 v[40:41], v[40:41], v[72:73], -v[130:131]
	v_fma_f64 v[56:57], v[108:109], v[68:69], v[70:71]
	v_fma_f64 v[58:59], v[110:111], v[72:73], v[74:75]
	v_fma_f64 v[60:61], v[112:113], v[76:77], v[78:79]
	v_fma_f64 v[12:13], v[12:13], v[84:85], v[86:87]
	v_mul_lo_u16 v2, v20, 19
	v_mul_lo_u16 v3, v18, 19
	v_and_b32_e32 v18, 0xffff, v19
	v_and_b32_e32 v108, 0xffff, v26
	v_mul_u32_u24_e32 v109, 0xd8, v27
	v_lshrrev_b16 v2, 9, v2
	ds_load_2addr_b64 v[28:31], v81 offset0:126 offset1:189
	v_mul_u32_u24_e32 v20, 0xd8, v18
	v_and_b32_e32 v18, 0xffff, v24
	v_and_b32_e32 v24, 0xffff, v25
	v_mul_lo_u16 v19, v2, 27
	v_lshrrev_b16 v3, 9, v3
	v_mul_u32_u24_e32 v108, 0xd8, v108
	v_mul_u32_u24_e32 v113, 0xd8, v18
	;; [unrolled: 1-line block ×3, first 2 shown]
	v_sub_nc_u16 v110, v80, v19
	ds_load_2addr_b64 v[24:27], v81 offset1:63
	v_mul_lo_u16 v111, v3, 27
	v_mul_lo_u16 v112, v17, 27
	v_add_f64_e32 v[62:63], v[118:119], v[116:117]
	v_add_f64_e32 v[74:75], v[4:5], v[118:119]
	;; [unrolled: 1-line block ×3, first 2 shown]
	v_add_f64_e64 v[96:97], v[48:49], -v[44:45]
	v_add_f64_e32 v[64:65], v[32:33], v[120:121]
	v_add_f64_e32 v[86:87], v[6:7], v[32:33]
	;; [unrolled: 1-line block ×5, first 2 shown]
	v_add_f64_e64 v[98:99], v[52:53], -v[46:47]
	v_add_f64_e32 v[66:67], v[34:35], v[36:37]
	v_add_f64_e64 v[32:33], v[32:33], -v[120:121]
	v_add_f64_e32 v[76:77], v[50:51], v[54:55]
	;; [unrolled: 2-line block ×3, first 2 shown]
	s_wait_dscnt 0x1
	v_add_f64_e32 v[50:51], v[28:29], v[50:51]
	v_add_f64_e32 v[78:79], v[58:59], v[56:57]
	s_wait_dscnt 0x0
	v_add_f64_e32 v[48:49], v[24:25], v[48:49]
	v_add_f64_e32 v[84:85], v[60:61], v[12:13]
	v_add_f64_e32 v[52:53], v[26:27], v[52:53]
	v_add_f64_e32 v[88:89], v[8:9], v[34:35]
	v_add_f64_e64 v[34:35], v[34:35], -v[36:37]
	v_add_f64_e32 v[90:91], v[10:11], v[40:41]
	global_wb scope:SCOPE_SE
	s_barrier_signal -1
	s_barrier_wait -1
	global_inv scope:SCOPE_SE
	v_and_b32_e32 v2, 0xffff, v2
	v_and_b32_e32 v3, 0xffff, v3
	s_delay_alu instid0(VALU_DEP_2) | instskip(NEXT) | instid1(VALU_DEP_2)
	v_mul_u32_u24_e32 v2, 0x438, v2
	v_mul_u32_u24_e32 v3, 0x438, v3
	v_fma_f64 v[62:63], v[62:63], -0.5, v[4:5]
	v_sub_nc_u16 v5, v103, v111
	v_fma_f64 v[18:19], v[18:19], -0.5, v[24:25]
	v_and_b32_e32 v4, 0xff, v110
	v_fma_f64 v[64:65], v[64:65], -0.5, v[6:7]
	v_sub_nc_u16 v6, v100, v112
	v_fma_f64 v[25:26], v[72:73], -0.5, v[26:27]
	v_add_f64_e32 v[72:73], v[74:75], v[116:117]
	v_fma_f64 v[0:1], v[70:71], -0.5, v[0:1]
	v_add_f64_e64 v[70:71], v[118:119], -v[116:117]
	v_fma_f64 v[7:8], v[66:67], -0.5, v[8:9]
	v_add_f64_e64 v[66:67], v[58:59], -v[56:57]
	v_add_f64_e32 v[58:59], v[30:31], v[58:59]
	v_fma_f64 v[27:28], v[76:77], -0.5, v[28:29]
	v_fma_f64 v[9:10], v[68:69], -0.5, v[10:11]
	v_add_f64_e64 v[68:69], v[60:61], -v[12:13]
	v_add_f64_e32 v[60:61], v[92:93], v[60:61]
	v_lshlrev_b32_e32 v11, 3, v23
	v_add_f64_e64 v[23:24], v[40:41], -v[38:39]
	v_fma_f64 v[29:30], v[78:79], -0.5, v[30:31]
	v_add_f64_e64 v[40:41], v[42:43], -v[114:115]
	v_fma_f64 v[42:43], v[84:85], -0.5, v[92:93]
	v_add3_u32 v111, 0, v20, v11
	v_lshlrev_b32_e32 v11, 3, v14
	v_lshlrev_b32_e32 v14, 3, v15
	;; [unrolled: 1-line block ×3, first 2 shown]
	v_add_f64_e32 v[76:77], v[94:95], v[114:115]
	v_add_f64_e32 v[74:75], v[86:87], v[120:121]
	v_add_f64_e32 v[36:37], v[88:89], v[36:37]
	v_add3_u32 v93, 0, v122, v14
	v_add3_u32 v94, 0, v108, v15
	v_add_f64_e32 v[14:15], v[48:49], v[44:45]
	v_add_f64_e32 v[44:45], v[52:53], v[46:47]
	;; [unrolled: 1-line block ×3, first 2 shown]
	v_add3_u32 v92, 0, v113, v11
	v_add_f64_e32 v[38:39], v[90:91], v[38:39]
	v_lshlrev_b32_e32 v20, 3, v22
	v_and_b32_e32 v5, 0xff, v5
	v_fma_f64 v[78:79], v[96:97], s[0:1], v[62:63]
	v_fma_f64 v[62:63], v[96:97], s[2:3], v[62:63]
	v_lshlrev_b32_e32 v110, 6, v4
	v_and_b32_e32 v6, 0xff, v6
	v_fma_f64 v[84:85], v[98:99], s[0:1], v[64:65]
	v_fma_f64 v[64:65], v[98:99], s[2:3], v[64:65]
	;; [unrolled: 1-line block ×3, first 2 shown]
	v_lshlrev_b32_e32 v112, 6, v5
	v_add3_u32 v95, 0, v109, v20
	v_fma_f64 v[50:51], v[70:71], s[2:3], v[18:19]
	v_fma_f64 v[52:53], v[70:71], s[0:1], v[18:19]
	;; [unrolled: 1-line block ×3, first 2 shown]
	v_add_f64_e32 v[48:49], v[58:59], v[56:57]
	v_fma_f64 v[56:57], v[32:33], s[0:1], v[25:26]
	v_fma_f64 v[58:59], v[34:35], s[2:3], v[27:28]
	;; [unrolled: 1-line block ×3, first 2 shown]
	v_add_f64_e32 v[11:12], v[60:61], v[12:13]
	v_fma_f64 v[60:61], v[34:35], s[0:1], v[27:28]
	v_fma_f64 v[88:89], v[66:67], s[0:1], v[9:10]
	;; [unrolled: 1-line block ×9, first 2 shown]
	ds_store_2addr_b64 v111, v[72:73], v[78:79] offset1:9
	ds_store_b64 v111, v[62:63] offset:144
	ds_store_2addr_b64 v92, v[74:75], v[84:85] offset1:9
	ds_store_b64 v92, v[64:65] offset:144
	;; [unrolled: 2-line block ×5, first 2 shown]
	global_wb scope:SCOPE_SE
	s_wait_dscnt 0x0
	s_barrier_signal -1
	s_barrier_wait -1
	global_inv scope:SCOPE_SE
	ds_load_2addr_b64 v[7:10], v81 offset1:63
	ds_load_2addr_b64 v[24:27], v81 offset0:126 offset1:189
	ds_load_2addr_b64 v[18:21], v102 offset0:122 offset1:185
	;; [unrolled: 1-line block ×6, first 2 shown]
	ds_load_b64 v[0:1], v81 offset:7056
	global_wb scope:SCOPE_SE
	s_wait_dscnt 0x0
	s_barrier_signal -1
	s_barrier_wait -1
	global_inv scope:SCOPE_SE
	ds_store_2addr_b64 v111, v[14:15], v[50:51] offset1:9
	ds_store_b64 v111, v[52:53] offset:144
	ds_store_2addr_b64 v92, v[44:45], v[54:55] offset1:9
	ds_store_b64 v92, v[56:57] offset:144
	;; [unrolled: 2-line block ×5, first 2 shown]
	global_wb scope:SCOPE_SE
	s_wait_dscnt 0x0
	s_barrier_signal -1
	s_barrier_wait -1
	global_inv scope:SCOPE_SE
	s_clause 0x1
	global_load_b128 v[44:47], v110, s[4:5] offset:400
	global_load_b128 v[48:51], v112, s[4:5] offset:400
	v_lshlrev_b32_e32 v11, 6, v6
	s_clause 0x9
	global_load_b128 v[60:63], v110, s[4:5] offset:432
	global_load_b128 v[84:87], v110, s[4:5] offset:416
	;; [unrolled: 1-line block ×10, first 2 shown]
	ds_load_2addr_b64 v[52:55], v102 offset0:122 offset1:185
	ds_load_2addr_b64 v[130:133], v104 offset0:116 offset1:179
	;; [unrolled: 1-line block ×6, first 2 shown]
	ds_load_b64 v[146:147], v81 offset:7056
	s_mov_b32 s2, 0x134454ff
	s_mov_b32 s3, 0x3fee6f0e
	s_wait_alu 0xfffe
	s_mov_b32 s6, s2
	v_and_b32_e32 v11, 0xffff, v17
	v_lshlrev_b32_e32 v4, 3, v4
	v_lshlrev_b32_e32 v5, 3, v5
	;; [unrolled: 1-line block ×3, first 2 shown]
	v_cmp_gt_u32_e64 s0, 9, v80
	v_mul_u32_u24_e32 v11, 0x438, v11
	s_wait_loadcnt_dscnt 0x905
	v_mul_f64_e32 v[64:65], v[130:131], v[62:63]
	s_wait_loadcnt_dscnt 0x804
	v_mul_f64_e32 v[66:67], v[136:137], v[86:87]
	;; [unrolled: 2-line block ×3, first 2 shown]
	s_wait_loadcnt 0x6
	v_mul_f64_e32 v[76:77], v[132:133], v[98:99]
	s_wait_loadcnt_dscnt 0x502
	v_mul_f64_e32 v[78:79], v[138:139], v[108:109]
	s_wait_loadcnt_dscnt 0x401
	v_mul_f64_e32 v[88:89], v[142:143], v[112:113]
	v_mul_f64_e32 v[22:23], v[52:53], v[46:47]
	;; [unrolled: 1-line block ×3, first 2 shown]
	s_wait_loadcnt 0x3
	v_mul_f64_e32 v[90:91], v[144:145], v[116:117]
	s_wait_loadcnt 0x2
	v_mul_f64_e32 v[148:149], v[134:135], v[120:121]
	s_wait_loadcnt_dscnt 0x100
	v_mul_f64_e32 v[150:151], v[146:147], v[124:125]
	s_wait_loadcnt 0x0
	v_mul_f64_e32 v[152:153], v[140:141], v[128:129]
	v_mul_f64_e32 v[154:155], v[32:33], v[62:63]
	;; [unrolled: 1-line block ×12, first 2 shown]
	v_fma_f64 v[70:71], v[32:33], v[60:61], -v[64:65]
	v_fma_f64 v[68:69], v[30:31], v[84:85], -v[66:67]
	;; [unrolled: 1-line block ×8, first 2 shown]
	v_mul_f64_e32 v[26:27], v[0:1], v[124:125]
	v_fma_f64 v[66:67], v[38:39], v[114:115], -v[90:91]
	v_fma_f64 v[62:63], v[28:29], v[118:119], -v[148:149]
	v_fma_f64 v[90:91], v[0:1], v[122:123], -v[150:151]
	v_fma_f64 v[88:89], v[42:43], v[126:127], -v[152:153]
	v_fma_f64 v[18:19], v[130:131], v[60:61], v[154:155]
	v_fma_f64 v[86:87], v[14:15], v[92:93], v[86:87]
	;; [unrolled: 1-line block ×11, first 2 shown]
	v_add_f64_e64 v[48:49], v[70:71], -v[68:69]
	v_add_f64_e32 v[14:15], v[74:75], v[70:71]
	v_add_f64_e32 v[34:35], v[7:8], v[74:75]
	v_add_f64_e64 v[84:85], v[68:69], -v[70:71]
	v_add_f64_e32 v[30:31], v[76:77], v[72:73]
	v_add_f64_e32 v[0:1], v[58:59], v[68:69]
	;; [unrolled: 1-line block ×3, first 2 shown]
	v_fma_f64 v[96:97], v[146:147], v[122:123], v[26:27]
	v_add_f64_e32 v[40:41], v[9:10], v[76:77]
	v_add_f64_e32 v[42:43], v[24:25], v[66:67]
	;; [unrolled: 1-line block ×4, first 2 shown]
	v_add_f64_e64 v[50:51], v[58:59], -v[74:75]
	v_add_f64_e64 v[36:37], v[86:87], -v[18:19]
	;; [unrolled: 1-line block ×13, first 2 shown]
	v_add_f64_e32 v[34:35], v[34:35], v[58:59]
	v_fma_f64 v[0:1], v[0:1], -0.5, v[7:8]
	v_fma_f64 v[7:8], v[14:15], -0.5, v[7:8]
	v_add_f64_e64 v[14:15], v[78:79], -v[20:21]
	v_fma_f64 v[28:29], v[28:29], -0.5, v[9:10]
	v_fma_f64 v[9:10], v[30:31], -0.5, v[9:10]
	v_add_f64_e64 v[30:31], v[60:61], -v[96:97]
	;; [unrolled: 3-line block ×3, first 2 shown]
	v_add_f64_e32 v[40:41], v[40:41], v[56:57]
	v_add_f64_e32 v[42:43], v[42:43], v[62:63]
	;; [unrolled: 1-line block ×3, first 2 shown]
	v_fma_f64 v[122:123], v[36:37], s[2:3], v[0:1]
	s_wait_alu 0xfffe
	v_fma_f64 v[124:125], v[38:39], s[6:7], v[7:8]
	v_fma_f64 v[7:8], v[38:39], s[2:3], v[7:8]
	;; [unrolled: 1-line block ×11, first 2 shown]
	v_add_f64_e32 v[32:33], v[32:33], v[48:49]
	v_add_f64_e32 v[48:49], v[50:51], v[84:85]
	;; [unrolled: 1-line block ×8, first 2 shown]
	v_fma_f64 v[110:111], v[38:39], s[10:11], v[122:123]
	v_fma_f64 v[112:113], v[36:37], s[10:11], v[124:125]
	;; [unrolled: 1-line block ×12, first 2 shown]
	v_add_f64_e32 v[30:31], v[34:35], v[70:71]
	v_add_f64_e32 v[34:35], v[40:41], v[72:73]
	;; [unrolled: 1-line block ×3, first 2 shown]
	v_fma_f64 v[42:43], v[32:33], s[14:15], v[110:111]
	v_fma_f64 v[46:47], v[48:49], s[14:15], v[112:113]
	;; [unrolled: 1-line block ×12, first 2 shown]
	v_add3_u32 v109, 0, v2, v4
	v_add3_u32 v108, 0, v3, v5
	v_add_nc_u32_e32 v106, 0x1800, v81
	v_add3_u32 v107, 0, v11, v6
	ds_load_2addr_b64 v[14:17], v81 offset1:63
	global_wb scope:SCOPE_SE
	s_wait_dscnt 0x0
	s_barrier_signal -1
	s_barrier_wait -1
	global_inv scope:SCOPE_SE
	ds_store_2addr_b64 v109, v[30:31], v[42:43] offset1:27
	ds_store_2addr_b64 v109, v[46:47], v[7:8] offset0:54 offset1:81
	ds_store_b64 v109, v[32:33] offset:864
	ds_store_2addr_b64 v108, v[34:35], v[36:37] offset1:27
	ds_store_2addr_b64 v108, v[38:39], v[9:10] offset0:54 offset1:81
	ds_store_b64 v108, v[28:29] offset:864
	;; [unrolled: 3-line block ×3, first 2 shown]
	global_wb scope:SCOPE_SE
	s_wait_dscnt 0x0
	s_barrier_signal -1
	s_barrier_wait -1
	global_inv scope:SCOPE_SE
	ds_load_2addr_b64 v[24:27], v81 offset1:63
	ds_load_2addr_b64 v[36:39], v81 offset0:135 offset1:198
	ds_load_2addr_b64 v[44:47], v102 offset0:14 offset1:77
	;; [unrolled: 1-line block ×6, first 2 shown]
                                        ; implicit-def: $vgpr84_vgpr85
                                        ; implicit-def: $vgpr6_vgpr7
                                        ; implicit-def: $vgpr10_vgpr11
	s_and_saveexec_b32 s1, s0
	s_cbranch_execz .LBB0_13
; %bb.12:
	v_add_nc_u32_e32 v0, 0x200, v81
	ds_load_2addr_b64 v[8:11], v105 offset0:12 offset1:147
	ds_load_2addr_b64 v[4:7], v104 offset0:26 offset1:161
	;; [unrolled: 1-line block ×3, first 2 shown]
	ds_load_b64 v[84:85], v81 offset:7488
.LBB0_13:
	s_wait_alu 0xfffe
	s_or_b32 exec_lo, exec_lo, s1
	v_add_f64_e32 v[104:105], v[52:53], v[22:23]
	v_add_f64_e32 v[110:111], v[86:87], v[18:19]
	;; [unrolled: 1-line block ×7, first 2 shown]
	v_add_f64_e64 v[70:71], v[74:75], -v[70:71]
	v_add_f64_e64 v[58:59], v[58:59], -v[68:69]
	v_add_f64_e32 v[68:69], v[16:17], v[78:79]
	v_add_f64_e32 v[74:75], v[12:13], v[60:61]
	v_add_f64_e64 v[72:73], v[76:77], -v[72:73]
	v_add_f64_e64 v[56:57], v[56:57], -v[64:65]
	;; [unrolled: 1-line block ×9, first 2 shown]
	global_wb scope:SCOPE_SE
	s_wait_dscnt 0x0
	s_barrier_signal -1
	s_barrier_wait -1
	global_inv scope:SCOPE_SE
	v_fma_f64 v[104:105], v[104:105], -0.5, v[14:15]
	v_fma_f64 v[14:15], v[110:111], -0.5, v[14:15]
	;; [unrolled: 1-line block ×6, first 2 shown]
	v_add_f64_e64 v[112:113], v[78:79], -v[54:55]
	v_add_f64_e64 v[78:79], v[54:55], -v[78:79]
	v_add_f64_e32 v[52:53], v[120:121], v[52:53]
	v_add_f64_e32 v[54:55], v[68:69], v[54:55]
	;; [unrolled: 1-line block ×3, first 2 shown]
	v_add_f64_e64 v[110:111], v[22:23], -v[18:19]
	v_add_f64_e64 v[118:119], v[60:61], -v[94:95]
	;; [unrolled: 1-line block ×5, first 2 shown]
	v_add_f64_e32 v[88:89], v[88:89], v[90:91]
	v_fma_f64 v[74:75], v[70:71], s[6:7], v[104:105]
	v_fma_f64 v[94:95], v[70:71], s[2:3], v[104:105]
	;; [unrolled: 1-line block ×12, first 2 shown]
	v_add_f64_e32 v[22:23], v[52:53], v[22:23]
	v_add_f64_e32 v[52:53], v[54:55], v[92:93]
	;; [unrolled: 1-line block ×8, first 2 shown]
	v_fma_f64 v[68:69], v[58:59], s[12:13], v[74:75]
	v_fma_f64 v[58:59], v[58:59], s[10:11], v[94:95]
	v_fma_f64 v[74:75], v[70:71], s[12:13], v[104:105]
	v_fma_f64 v[14:15], v[70:71], s[10:11], v[14:15]
	v_fma_f64 v[70:71], v[56:57], s[12:13], v[120:121]
	v_fma_f64 v[56:57], v[56:57], s[10:11], v[64:65]
	v_fma_f64 v[64:65], v[72:73], s[12:13], v[126:127]
	v_fma_f64 v[16:17], v[72:73], s[10:11], v[16:17]
	v_fma_f64 v[72:73], v[62:63], s[12:13], v[128:129]
	v_fma_f64 v[92:93], v[66:67], s[12:13], v[130:131]
	v_fma_f64 v[12:13], v[66:67], s[10:11], v[12:13]
	v_fma_f64 v[62:63], v[62:63], s[10:11], v[76:77]
	v_add_f64_e32 v[18:19], v[22:23], v[18:19]
	v_add_f64_e32 v[20:21], v[52:53], v[20:21]
	;; [unrolled: 1-line block ×3, first 2 shown]
	v_fma_f64 v[52:53], v[88:89], s[14:15], v[68:69]
	v_fma_f64 v[54:55], v[88:89], s[14:15], v[58:59]
	;; [unrolled: 1-line block ×12, first 2 shown]
                                        ; implicit-def: $vgpr86_vgpr87
	ds_store_2addr_b64 v109, v[18:19], v[52:53] offset1:27
	ds_store_2addr_b64 v109, v[58:59], v[14:15] offset0:54 offset1:81
	ds_store_b64 v109, v[54:55] offset:864
	ds_store_2addr_b64 v108, v[20:21], v[66:67] offset1:27
	ds_store_2addr_b64 v108, v[64:65], v[16:17] offset0:54 offset1:81
	ds_store_b64 v108, v[56:57] offset:864
	;; [unrolled: 3-line block ×3, first 2 shown]
	global_wb scope:SCOPE_SE
	s_wait_dscnt 0x0
	s_barrier_signal -1
	s_barrier_wait -1
	global_inv scope:SCOPE_SE
	ds_load_2addr_b64 v[52:55], v81 offset1:63
	ds_load_2addr_b64 v[64:67], v81 offset0:135 offset1:198
	ds_load_2addr_b64 v[68:71], v102 offset0:14 offset1:77
	;; [unrolled: 1-line block ×6, first 2 shown]
                                        ; implicit-def: $vgpr18_vgpr19
                                        ; implicit-def: $vgpr22_vgpr23
	s_and_saveexec_b32 s1, s0
	s_cbranch_execz .LBB0_15
; %bb.14:
	v_add_nc_u32_e32 v12, 0x200, v81
	v_add_nc_u32_e32 v16, 0xc00, v81
	;; [unrolled: 1-line block ×3, first 2 shown]
	ds_load_2addr_b64 v[12:15], v12 offset0:62 offset1:197
	ds_load_2addr_b64 v[20:23], v16 offset0:12 offset1:147
	;; [unrolled: 1-line block ×3, first 2 shown]
	ds_load_b64 v[86:87], v81 offset:7488
.LBB0_15:
	s_wait_alu 0xfffe
	s_or_b32 exec_lo, exec_lo, s1
	s_and_saveexec_b32 s1, vcc_lo
	s_cbranch_execz .LBB0_18
; %bb.16:
	v_mul_u32_u24_e32 v81, 6, v103
	v_mul_u32_u24_e32 v96, 6, v80
	s_mov_b32 s2, 0xe976ee23
	s_mov_b32 s12, 0x36b3c0b5
	;; [unrolled: 1-line block ×3, first 2 shown]
	v_lshlrev_b32_e32 v81, 4, v81
	v_lshlrev_b32_e32 v133, 4, v96
	s_mov_b32 s10, 0x429ad128
	s_mov_b32 s3, 0xbfe11646
	;; [unrolled: 1-line block ×3, first 2 shown]
	s_clause 0xb
	global_load_b128 v[88:91], v81, s[4:5] offset:2128
	global_load_b128 v[92:95], v81, s[4:5] offset:2176
	;; [unrolled: 1-line block ×12, first 2 shown]
	s_mov_b32 s17, 0x3fe948f6
	s_mov_b32 s11, 0x3febfeb5
	;; [unrolled: 1-line block ×10, first 2 shown]
	s_wait_alu 0xfffe
	s_mov_b32 s22, s6
	s_mov_b32 s18, s20
	;; [unrolled: 1-line block ×4, first 2 shown]
	v_mov_b32_e32 v81, 0
	s_wait_loadcnt 0x9
	v_mul_f64_e32 v[141:142], v[38:39], v[98:99]
	s_wait_loadcnt 0x8
	v_mul_f64_e32 v[143:144], v[42:43], v[103:104]
	s_wait_dscnt 0x5
	v_mul_f64_e32 v[98:99], v[66:67], v[98:99]
	s_wait_dscnt 0x0
	v_mul_f64_e32 v[103:104], v[74:75], v[103:104]
	s_wait_loadcnt 0x7
	v_mul_f64_e32 v[145:146], v[68:69], v[107:108]
	s_wait_loadcnt 0x6
	v_mul_f64_e32 v[147:148], v[76:77], v[111:112]
	v_mul_f64_e32 v[107:108], v[44:45], v[107:108]
	;; [unrolled: 1-line block ×7, first 2 shown]
	s_wait_loadcnt 0x5
	v_mul_f64_e32 v[149:150], v[36:37], v[115:116]
	s_wait_loadcnt 0x4
	v_mul_f64_e32 v[151:152], v[40:41], v[119:120]
	v_mul_f64_e32 v[115:116], v[64:65], v[115:116]
	;; [unrolled: 1-line block ×3, first 2 shown]
	s_wait_loadcnt 0x3
	v_mul_f64_e32 v[153:154], v[58:59], v[123:124]
	s_wait_loadcnt 0x2
	v_mul_f64_e32 v[155:156], v[62:63], v[127:128]
	v_mul_f64_e32 v[127:128], v[30:31], v[127:128]
	;; [unrolled: 1-line block ×3, first 2 shown]
	s_wait_loadcnt 0x1
	v_mul_f64_e32 v[157:158], v[56:57], v[131:132]
	s_wait_loadcnt 0x0
	v_mul_f64_e32 v[159:160], v[60:61], v[135:136]
	v_mul_f64_e32 v[135:136], v[28:29], v[135:136]
	v_fma_f64 v[66:67], v[66:67], v[96:97], v[141:142]
	v_fma_f64 v[74:75], v[74:75], v[101:102], v[143:144]
	v_fma_f64 v[38:39], v[38:39], v[96:97], -v[98:99]
	v_fma_f64 v[42:43], v[42:43], v[101:102], -v[103:104]
	;; [unrolled: 1-line block ×4, first 2 shown]
	v_fma_f64 v[68:69], v[68:69], v[105:106], v[107:108]
	v_fma_f64 v[46:47], v[46:47], v[88:89], -v[137:138]
	v_fma_f64 v[70:71], v[70:71], v[88:89], v[90:91]
	v_fma_f64 v[50:51], v[50:51], v[92:93], -v[139:140]
	v_fma_f64 v[78:79], v[78:79], v[92:93], v[94:95]
	v_mul_f64_e32 v[88:89], v[32:33], v[131:132]
	v_fma_f64 v[76:77], v[76:77], v[109:110], v[111:112]
	v_fma_f64 v[64:65], v[64:65], v[113:114], v[149:150]
	;; [unrolled: 1-line block ×3, first 2 shown]
	v_fma_f64 v[36:37], v[36:37], v[113:114], -v[115:116]
	v_fma_f64 v[40:41], v[40:41], v[117:118], -v[119:120]
	;; [unrolled: 1-line block ×4, first 2 shown]
	v_fma_f64 v[62:63], v[62:63], v[125:126], v[127:128]
	v_fma_f64 v[58:59], v[58:59], v[121:122], v[123:124]
	v_fma_f64 v[32:33], v[32:33], v[129:130], -v[157:158]
	v_fma_f64 v[28:29], v[28:29], v[133:134], -v[159:160]
	v_fma_f64 v[60:61], v[60:61], v[133:134], v[135:136]
	v_add_f64_e32 v[92:93], v[66:67], v[74:75]
	v_add_f64_e32 v[96:97], v[38:39], v[42:43]
	v_add_f64_e64 v[38:39], v[38:39], -v[42:43]
	v_add_f64_e32 v[101:102], v[44:45], v[48:49]
	v_add_f64_e64 v[42:43], v[66:67], -v[74:75]
	v_add_f64_e64 v[44:45], v[44:45], -v[48:49]
	v_add_f64_e32 v[94:95], v[46:47], v[50:51]
	v_add_f64_e32 v[90:91], v[70:71], v[78:79]
	v_fma_f64 v[56:57], v[56:57], v[129:130], v[88:89]
	v_add_f64_e32 v[88:89], v[68:69], v[76:77]
	v_add_f64_e64 v[46:47], v[46:47], -v[50:51]
	v_add_f64_e32 v[98:99], v[64:65], v[72:73]
	v_add_f64_e32 v[103:104], v[36:37], v[40:41]
	v_add_f64_e64 v[36:37], v[36:37], -v[40:41]
	v_add_f64_e64 v[105:106], v[34:35], -v[30:31]
	v_add_f64_e32 v[30:31], v[34:35], v[30:31]
	v_add_f64_e32 v[50:51], v[58:59], v[62:63]
	v_add_f64_e64 v[34:35], v[58:59], -v[62:63]
	v_add_f64_e64 v[58:59], v[70:71], -v[78:79]
	;; [unrolled: 1-line block ×4, first 2 shown]
	v_add_f64_e32 v[28:29], v[32:33], v[28:29]
	v_add_f64_e32 v[66:67], v[94:95], v[96:97]
	;; [unrolled: 1-line block ×4, first 2 shown]
	v_add_f64_e64 v[56:57], v[56:57], -v[60:61]
	v_add_f64_e64 v[60:61], v[68:69], -v[76:77]
	v_add_f64_e32 v[32:33], v[88:89], v[98:99]
	v_add_f64_e64 v[78:79], v[46:47], -v[38:39]
	v_add_f64_e32 v[64:65], v[101:102], v[103:104]
	v_add_f64_e64 v[115:116], v[44:45], -v[36:37]
	v_add_f64_e64 v[68:69], v[105:106], -v[46:47]
	v_add_f64_e64 v[74:75], v[96:97], -v[30:31]
	v_add_f64_e64 v[72:73], v[92:93], -v[50:51]
	v_add_f64_e64 v[111:112], v[30:31], -v[94:95]
	v_add_f64_e64 v[76:77], v[34:35], -v[58:59]
	v_add_f64_e64 v[109:110], v[62:63], -v[44:45]
	v_add_f64_e64 v[107:108], v[58:59], -v[42:43]
	v_add_f64_e64 v[119:120], v[103:104], -v[28:29]
	v_add_f64_e64 v[123:124], v[28:29], -v[101:102]
	v_add_f64_e32 v[46:47], v[105:106], v[46:47]
	v_add_f64_e64 v[105:106], v[38:39], -v[105:106]
	v_add_f64_e32 v[58:59], v[34:35], v[58:59]
	v_add_f64_e64 v[34:35], v[42:43], -v[34:35]
	;; [unrolled: 2-line block ×3, first 2 shown]
	v_add_f64_e32 v[66:67], v[30:31], v[66:67]
	v_add_f64_e32 v[48:49], v[50:51], v[48:49]
	v_add_f64_e64 v[50:51], v[50:51], -v[90:91]
	v_add_f64_e64 v[30:31], v[98:99], -v[70:71]
	v_add_f64_e64 v[113:114], v[56:57], -v[60:61]
	v_add_f64_e32 v[121:122], v[70:71], v[32:33]
	v_add_f64_e64 v[117:118], v[60:61], -v[40:41]
	v_add_f64_e32 v[64:65], v[28:29], v[64:65]
	v_add_f64_e64 v[70:71], v[70:71], -v[88:89]
	v_add_f64_e32 v[60:61], v[56:57], v[60:61]
	v_mul_f64_e32 v[68:69], s[2:3], v[68:69]
	v_mul_f64_e32 v[72:73], s[16:17], v[72:73]
	;; [unrolled: 1-line block ×5, first 2 shown]
	v_add_f64_e64 v[90:91], v[90:91], -v[92:93]
	v_add_f64_e64 v[92:93], v[94:95], -v[96:97]
	;; [unrolled: 1-line block ×3, first 2 shown]
	v_mul_f64_e32 v[96:97], s[2:3], v[109:110]
	v_mul_f64_e32 v[109:110], s[12:13], v[111:112]
	;; [unrolled: 1-line block ×5, first 2 shown]
	v_add_f64_e32 v[38:39], v[46:47], v[38:39]
	v_add_f64_e32 v[42:43], v[58:59], v[42:43]
	;; [unrolled: 1-line block ×5, first 2 shown]
	v_mul_f64_e32 v[54:55], s[12:13], v[50:51]
	v_mul_f64_e32 v[127:128], s[16:17], v[30:31]
	;; [unrolled: 1-line block ×3, first 2 shown]
	v_add_f64_e32 v[32:33], v[52:53], v[121:122]
	v_mul_f64_e32 v[131:132], s[10:11], v[117:118]
	v_add_f64_e32 v[30:31], v[24:25], v[64:65]
	v_add_f64_e64 v[24:25], v[88:89], -v[98:99]
	v_add_f64_e64 v[52:53], v[101:102], -v[103:104]
	v_mul_f64_e32 v[88:89], s[12:13], v[70:71]
	v_mul_f64_e32 v[98:99], s[12:13], v[123:124]
	v_add_f64_e32 v[40:41], v[60:61], v[40:41]
	v_fma_f64 v[44:45], v[105:106], s[6:7], v[68:69]
	v_fma_f64 v[46:47], v[50:51], s[12:13], v[72:73]
	;; [unrolled: 1-line block ×4, first 2 shown]
	s_wait_alu 0xfffe
	v_fma_f64 v[60:61], v[105:106], s[22:23], -v[125:126]
	v_fma_f64 v[72:73], v[90:91], s[20:21], -v[72:73]
	v_fma_f64 v[74:75], v[92:93], s[20:21], -v[74:75]
	v_fma_f64 v[68:69], v[78:79], s[10:11], -v[68:69]
	v_fma_f64 v[76:77], v[107:108], s[10:11], -v[76:77]
	v_fma_f64 v[78:79], v[62:63], s[6:7], v[96:97]
	v_fma_f64 v[101:102], v[123:124], s[12:13], v[119:120]
	v_fma_f64 v[62:63], v[62:63], s[22:23], -v[129:130]
	v_fma_f64 v[34:35], v[34:35], s[22:23], -v[94:95]
	;; [unrolled: 1-line block ×3, first 2 shown]
	v_fma_f64 v[66:67], v[66:67], s[14:15], v[26:27]
	v_fma_f64 v[48:49], v[48:49], s[14:15], v[28:29]
	v_fma_f64 v[54:55], v[90:91], s[18:19], -v[54:55]
	v_fma_f64 v[90:91], v[92:93], s[18:19], -v[109:110]
	v_fma_f64 v[70:71], v[70:71], s[12:13], v[127:128]
	v_fma_f64 v[92:93], v[56:57], s[6:7], v[113:114]
	;; [unrolled: 1-line block ×4, first 2 shown]
	v_fma_f64 v[56:57], v[56:57], s[22:23], -v[131:132]
	v_fma_f64 v[105:106], v[24:25], s[20:21], -v[127:128]
	;; [unrolled: 1-line block ×6, first 2 shown]
	v_fma_f64 v[88:89], v[38:39], s[24:25], v[44:45]
	v_fma_f64 v[98:99], v[42:43], s[24:25], v[58:59]
	;; [unrolled: 1-line block ×8, first 2 shown]
	v_add_f64_e32 v[111:112], v[50:51], v[66:67]
	v_add_f64_e32 v[76:77], v[46:47], v[48:49]
	;; [unrolled: 1-line block ×5, first 2 shown]
	v_fma_f64 v[92:93], v[40:41], s[24:25], v[92:93]
	v_add_f64_e32 v[113:114], v[70:71], v[103:104]
	v_add_f64_e32 v[101:102], v[101:102], v[64:65]
	v_fma_f64 v[90:91], v[36:37], s[24:25], v[62:63]
	v_fma_f64 v[109:110], v[40:41], s[24:25], v[56:57]
	v_add_f64_e32 v[105:106], v[105:106], v[103:104]
	v_add_f64_e32 v[107:108], v[107:108], v[64:65]
	;; [unrolled: 1-line block ×3, first 2 shown]
	v_fma_f64 v[96:97], v[40:41], s[24:25], v[96:97]
	v_add_f64_e32 v[24:25], v[24:25], v[103:104]
	v_add_f64_e32 v[70:71], v[52:53], v[64:65]
	v_add_f64_e64 v[56:57], v[76:77], -v[88:89]
	v_add_f64_e32 v[40:41], v[58:59], v[72:73]
	v_add_f64_e64 v[44:45], v[46:47], -v[60:61]
	v_add_f64_e32 v[48:49], v[60:61], v[46:47]
	v_add_f64_e64 v[52:53], v[72:73], -v[58:59]
	v_add_f64_e64 v[60:61], v[113:114], -v[78:79]
	v_add_f64_e32 v[58:59], v[92:93], v[101:102]
	v_add_f64_e32 v[42:43], v[68:69], v[54:55]
	v_add_f64_e64 v[46:47], v[54:55], -v[68:69]
	v_add_f64_e32 v[54:55], v[98:99], v[111:112]
	v_add_f64_e64 v[64:65], v[105:106], -v[90:91]
	v_add_f64_e32 v[62:63], v[109:110], v[107:108]
	v_add_f64_e32 v[50:51], v[34:35], v[74:75]
	;; [unrolled: 1-line block ×3, first 2 shown]
	v_add_f64_e64 v[66:67], v[70:71], -v[96:97]
	v_add_f64_e64 v[72:73], v[24:25], -v[94:95]
	v_add_f64_e32 v[70:71], v[96:97], v[70:71]
	v_add_f64_e32 v[36:37], v[88:89], v[76:77]
	v_add_f64_e64 v[38:39], v[74:75], -v[34:35]
	v_add_f64_e32 v[76:77], v[90:91], v[105:106]
	v_add_f64_e64 v[74:75], v[107:108], -v[109:110]
	v_add_f64_e32 v[90:91], v[78:79], v[113:114]
	v_add_f64_e64 v[88:89], v[101:102], -v[92:93]
	v_add_f64_e64 v[34:35], v[111:112], -v[98:99]
	v_lshlrev_b64_e32 v[24:25], 4, v[80:81]
	v_add_co_u32 v78, vcc_lo, s8, v82
	s_wait_alu 0xfffd
	v_add_co_ci_u32_e32 v79, vcc_lo, s9, v83, vcc_lo
	s_delay_alu instid0(VALU_DEP_2) | instskip(SKIP_1) | instid1(VALU_DEP_2)
	v_add_co_u32 v24, vcc_lo, v78, v24
	s_wait_alu 0xfffd
	v_add_co_ci_u32_e32 v25, vcc_lo, v79, v25, vcc_lo
	s_clause 0xd
	global_store_b128 v[24:25], v[30:33], off
	global_store_b128 v[24:25], v[26:29], off offset:1008
	global_store_b128 v[24:25], v[58:61], off offset:2160
	global_store_b128 v[24:25], v[54:57], off offset:3168
	global_store_b128 v[24:25], v[62:65], off offset:4320
	global_store_b128 v[24:25], v[50:53], off offset:5328
	global_store_b128 v[24:25], v[66:69], off offset:6480
	global_store_b128 v[24:25], v[46:49], off offset:7488
	global_store_b128 v[24:25], v[70:73], off offset:8640
	global_store_b128 v[24:25], v[42:45], off offset:9648
	global_store_b128 v[24:25], v[74:77], off offset:10800
	global_store_b128 v[24:25], v[38:41], off offset:11808
	global_store_b128 v[24:25], v[88:91], off offset:12960
	global_store_b128 v[24:25], v[34:37], off offset:13968
	s_and_b32 exec_lo, exec_lo, s0
	s_cbranch_execz .LBB0_18
; %bb.17:
	v_add_nc_u32_e32 v26, -9, v80
	s_delay_alu instid0(VALU_DEP_1) | instskip(NEXT) | instid1(VALU_DEP_1)
	v_cndmask_b32_e64 v26, v26, v100, s0
	v_mul_i32_i24_e32 v80, 6, v26
	s_delay_alu instid0(VALU_DEP_1) | instskip(NEXT) | instid1(VALU_DEP_1)
	v_lshlrev_b64_e32 v[26:27], 4, v[80:81]
	v_add_co_u32 v46, vcc_lo, s4, v26
	s_wait_alu 0xfffd
	s_delay_alu instid0(VALU_DEP_2)
	v_add_co_ci_u32_e32 v47, vcc_lo, s5, v27, vcc_lo
	s_clause 0x5
	global_load_b128 v[26:29], v[46:47], off offset:2112
	global_load_b128 v[30:33], v[46:47], off offset:2128
	global_load_b128 v[34:37], v[46:47], off offset:2192
	global_load_b128 v[38:41], v[46:47], off offset:2176
	global_load_b128 v[42:45], v[46:47], off offset:2144
	global_load_b128 v[46:49], v[46:47], off offset:2160
	s_wait_loadcnt 0x5
	v_mul_f64_e32 v[50:51], v[14:15], v[28:29]
	v_mul_f64_e32 v[28:29], v[2:3], v[28:29]
	s_wait_loadcnt 0x4
	v_mul_f64_e32 v[52:53], v[20:21], v[32:33]
	v_mul_f64_e32 v[32:33], v[8:9], v[32:33]
	;; [unrolled: 3-line block ×6, first 2 shown]
	v_fma_f64 v[2:3], v[2:3], v[26:27], -v[50:51]
	v_fma_f64 v[14:15], v[14:15], v[26:27], v[28:29]
	v_fma_f64 v[8:9], v[8:9], v[30:31], -v[52:53]
	v_fma_f64 v[20:21], v[20:21], v[30:31], v[32:33]
	;; [unrolled: 2-line block ×6, first 2 shown]
	v_add_f64_e32 v[30:31], v[2:3], v[26:27]
	v_add_f64_e32 v[32:33], v[14:15], v[28:29]
	v_add_f64_e32 v[34:35], v[8:9], v[6:7]
	v_add_f64_e32 v[36:37], v[20:21], v[18:19]
	v_add_f64_e64 v[6:7], v[8:9], -v[6:7]
	v_add_f64_e64 v[8:9], v[20:21], -v[18:19]
	v_add_f64_e32 v[18:19], v[10:11], v[4:5]
	v_add_f64_e32 v[20:21], v[22:23], v[16:17]
	v_add_f64_e64 v[4:5], v[4:5], -v[10:11]
	v_add_f64_e64 v[10:11], v[16:17], -v[22:23]
	;; [unrolled: 1-line block ×4, first 2 shown]
	v_add_f64_e32 v[2:3], v[34:35], v[30:31]
	v_add_f64_e32 v[22:23], v[36:37], v[32:33]
	v_add_f64_e64 v[26:27], v[30:31], -v[18:19]
	v_add_f64_e64 v[28:29], v[32:33], -v[20:21]
	;; [unrolled: 1-line block ×6, first 2 shown]
	v_add_f64_e32 v[6:7], v[4:5], v[6:7]
	v_add_f64_e32 v[8:9], v[10:11], v[8:9]
	v_add_f64_e64 v[4:5], v[16:17], -v[4:5]
	v_add_f64_e64 v[10:11], v[14:15], -v[10:11]
	v_add_f64_e32 v[46:47], v[18:19], v[2:3]
	v_add_f64_e32 v[22:23], v[20:21], v[22:23]
	v_add_f64_e64 v[18:19], v[18:19], -v[34:35]
	v_add_f64_e64 v[20:21], v[20:21], -v[36:37]
	v_mul_f64_e32 v[26:27], s[16:17], v[26:27]
	v_mul_f64_e32 v[28:29], s[16:17], v[28:29]
	;; [unrolled: 1-line block ×6, first 2 shown]
	v_add_f64_e32 v[6:7], v[6:7], v[16:17]
	v_add_f64_e32 v[8:9], v[8:9], v[14:15]
	;; [unrolled: 1-line block ×4, first 2 shown]
	v_add_f64_e64 v[12:13], v[34:35], -v[30:31]
	v_add_f64_e64 v[30:31], v[36:37], -v[32:33]
	v_mul_f64_e32 v[32:33], s[12:13], v[18:19]
	v_mul_f64_e32 v[34:35], s[12:13], v[20:21]
	v_fma_f64 v[14:15], v[18:19], s[12:13], v[26:27]
	v_fma_f64 v[16:17], v[20:21], s[12:13], v[28:29]
	v_fma_f64 v[18:19], v[4:5], s[6:7], v[38:39]
	v_fma_f64 v[20:21], v[10:11], s[6:7], v[40:41]
	v_fma_f64 v[36:37], v[42:43], s[10:11], -v[38:39]
	v_fma_f64 v[38:39], v[44:45], s[10:11], -v[40:41]
	;; [unrolled: 1-line block ×4, first 2 shown]
	v_fma_f64 v[40:41], v[46:47], s[14:15], v[0:1]
	v_fma_f64 v[22:23], v[22:23], s[14:15], v[2:3]
	v_fma_f64 v[26:27], v[12:13], s[20:21], -v[26:27]
	v_fma_f64 v[28:29], v[30:31], s[20:21], -v[28:29]
	v_fma_f64 v[12:13], v[12:13], s[18:19], -v[32:33]
	v_fma_f64 v[30:31], v[30:31], s[18:19], -v[34:35]
	v_fma_f64 v[32:33], v[6:7], s[24:25], v[18:19]
	v_fma_f64 v[34:35], v[8:9], s[24:25], v[20:21]
	;; [unrolled: 1-line block ×6, first 2 shown]
	v_add_f64_e32 v[42:43], v[14:15], v[40:41]
	v_add_f64_e32 v[44:45], v[16:17], v[22:23]
	;; [unrolled: 1-line block ×7, first 2 shown]
	v_add_f64_e64 v[6:7], v[44:45], -v[32:33]
	v_add_f64_e32 v[8:9], v[38:39], v[26:27]
	v_add_f64_e64 v[10:11], v[28:29], -v[36:37]
	v_add_f64_e64 v[12:13], v[16:17], -v[20:21]
	v_add_f64_e32 v[14:15], v[18:19], v[22:23]
	v_add_f64_e32 v[16:17], v[20:21], v[16:17]
	v_add_f64_e64 v[18:19], v[22:23], -v[18:19]
	v_add_f64_e64 v[20:21], v[26:27], -v[38:39]
	v_add_f64_e32 v[22:23], v[36:37], v[28:29]
	v_add_f64_e64 v[26:27], v[42:43], -v[34:35]
	v_add_f64_e32 v[28:29], v[32:33], v[44:45]
	s_clause 0x6
	global_store_b128 v[24:25], v[0:3], off offset:2016
	global_store_b128 v[24:25], v[4:7], off offset:4176
	;; [unrolled: 1-line block ×7, first 2 shown]
.LBB0_18:
	s_nop 0
	s_sendmsg sendmsg(MSG_DEALLOC_VGPRS)
	s_endpgm
	.section	.rodata,"a",@progbits
	.p2align	6, 0x0
	.amdhsa_kernel fft_rtc_fwd_len945_factors_3_3_3_5_7_wgs_63_tpt_63_halfLds_dp_ip_CI_unitstride_sbrr_dirReg
		.amdhsa_group_segment_fixed_size 0
		.amdhsa_private_segment_fixed_size 0
		.amdhsa_kernarg_size 88
		.amdhsa_user_sgpr_count 2
		.amdhsa_user_sgpr_dispatch_ptr 0
		.amdhsa_user_sgpr_queue_ptr 0
		.amdhsa_user_sgpr_kernarg_segment_ptr 1
		.amdhsa_user_sgpr_dispatch_id 0
		.amdhsa_user_sgpr_private_segment_size 0
		.amdhsa_wavefront_size32 1
		.amdhsa_uses_dynamic_stack 0
		.amdhsa_enable_private_segment 0
		.amdhsa_system_sgpr_workgroup_id_x 1
		.amdhsa_system_sgpr_workgroup_id_y 0
		.amdhsa_system_sgpr_workgroup_id_z 0
		.amdhsa_system_sgpr_workgroup_info 0
		.amdhsa_system_vgpr_workitem_id 0
		.amdhsa_next_free_vgpr 161
		.amdhsa_next_free_sgpr 32
		.amdhsa_reserve_vcc 1
		.amdhsa_float_round_mode_32 0
		.amdhsa_float_round_mode_16_64 0
		.amdhsa_float_denorm_mode_32 3
		.amdhsa_float_denorm_mode_16_64 3
		.amdhsa_fp16_overflow 0
		.amdhsa_workgroup_processor_mode 1
		.amdhsa_memory_ordered 1
		.amdhsa_forward_progress 0
		.amdhsa_round_robin_scheduling 0
		.amdhsa_exception_fp_ieee_invalid_op 0
		.amdhsa_exception_fp_denorm_src 0
		.amdhsa_exception_fp_ieee_div_zero 0
		.amdhsa_exception_fp_ieee_overflow 0
		.amdhsa_exception_fp_ieee_underflow 0
		.amdhsa_exception_fp_ieee_inexact 0
		.amdhsa_exception_int_div_zero 0
	.end_amdhsa_kernel
	.text
.Lfunc_end0:
	.size	fft_rtc_fwd_len945_factors_3_3_3_5_7_wgs_63_tpt_63_halfLds_dp_ip_CI_unitstride_sbrr_dirReg, .Lfunc_end0-fft_rtc_fwd_len945_factors_3_3_3_5_7_wgs_63_tpt_63_halfLds_dp_ip_CI_unitstride_sbrr_dirReg
                                        ; -- End function
	.section	.AMDGPU.csdata,"",@progbits
; Kernel info:
; codeLenInByte = 11044
; NumSgprs: 34
; NumVgprs: 161
; ScratchSize: 0
; MemoryBound: 1
; FloatMode: 240
; IeeeMode: 1
; LDSByteSize: 0 bytes/workgroup (compile time only)
; SGPRBlocks: 4
; VGPRBlocks: 20
; NumSGPRsForWavesPerEU: 34
; NumVGPRsForWavesPerEU: 161
; Occupancy: 9
; WaveLimiterHint : 1
; COMPUTE_PGM_RSRC2:SCRATCH_EN: 0
; COMPUTE_PGM_RSRC2:USER_SGPR: 2
; COMPUTE_PGM_RSRC2:TRAP_HANDLER: 0
; COMPUTE_PGM_RSRC2:TGID_X_EN: 1
; COMPUTE_PGM_RSRC2:TGID_Y_EN: 0
; COMPUTE_PGM_RSRC2:TGID_Z_EN: 0
; COMPUTE_PGM_RSRC2:TIDIG_COMP_CNT: 0
	.text
	.p2alignl 7, 3214868480
	.fill 96, 4, 3214868480
	.type	__hip_cuid_5e8fe39bcbe85fb0,@object ; @__hip_cuid_5e8fe39bcbe85fb0
	.section	.bss,"aw",@nobits
	.globl	__hip_cuid_5e8fe39bcbe85fb0
__hip_cuid_5e8fe39bcbe85fb0:
	.byte	0                               ; 0x0
	.size	__hip_cuid_5e8fe39bcbe85fb0, 1

	.ident	"AMD clang version 19.0.0git (https://github.com/RadeonOpenCompute/llvm-project roc-6.4.0 25133 c7fe45cf4b819c5991fe208aaa96edf142730f1d)"
	.section	".note.GNU-stack","",@progbits
	.addrsig
	.addrsig_sym __hip_cuid_5e8fe39bcbe85fb0
	.amdgpu_metadata
---
amdhsa.kernels:
  - .args:
      - .actual_access:  read_only
        .address_space:  global
        .offset:         0
        .size:           8
        .value_kind:     global_buffer
      - .offset:         8
        .size:           8
        .value_kind:     by_value
      - .actual_access:  read_only
        .address_space:  global
        .offset:         16
        .size:           8
        .value_kind:     global_buffer
      - .actual_access:  read_only
        .address_space:  global
        .offset:         24
        .size:           8
        .value_kind:     global_buffer
      - .offset:         32
        .size:           8
        .value_kind:     by_value
      - .actual_access:  read_only
        .address_space:  global
        .offset:         40
        .size:           8
        .value_kind:     global_buffer
      - .actual_access:  read_only
        .address_space:  global
        .offset:         48
        .size:           8
        .value_kind:     global_buffer
      - .offset:         56
        .size:           4
        .value_kind:     by_value
      - .actual_access:  read_only
        .address_space:  global
        .offset:         64
        .size:           8
        .value_kind:     global_buffer
      - .actual_access:  read_only
        .address_space:  global
        .offset:         72
        .size:           8
        .value_kind:     global_buffer
      - .address_space:  global
        .offset:         80
        .size:           8
        .value_kind:     global_buffer
    .group_segment_fixed_size: 0
    .kernarg_segment_align: 8
    .kernarg_segment_size: 88
    .language:       OpenCL C
    .language_version:
      - 2
      - 0
    .max_flat_workgroup_size: 63
    .name:           fft_rtc_fwd_len945_factors_3_3_3_5_7_wgs_63_tpt_63_halfLds_dp_ip_CI_unitstride_sbrr_dirReg
    .private_segment_fixed_size: 0
    .sgpr_count:     34
    .sgpr_spill_count: 0
    .symbol:         fft_rtc_fwd_len945_factors_3_3_3_5_7_wgs_63_tpt_63_halfLds_dp_ip_CI_unitstride_sbrr_dirReg.kd
    .uniform_work_group_size: 1
    .uses_dynamic_stack: false
    .vgpr_count:     161
    .vgpr_spill_count: 0
    .wavefront_size: 32
    .workgroup_processor_mode: 1
amdhsa.target:   amdgcn-amd-amdhsa--gfx1201
amdhsa.version:
  - 1
  - 2
...

	.end_amdgpu_metadata
